;; amdgpu-corpus repo=ROCm/rocFFT kind=compiled arch=gfx1201 opt=O3
	.text
	.amdgcn_target "amdgcn-amd-amdhsa--gfx1201"
	.amdhsa_code_object_version 6
	.protected	fft_rtc_back_len108_factors_9_4_3_wgs_192_tpt_12_halfLds_dim1_sp_op_CI_CI_unitstride_sbrr_R2C_dirReg ; -- Begin function fft_rtc_back_len108_factors_9_4_3_wgs_192_tpt_12_halfLds_dim1_sp_op_CI_CI_unitstride_sbrr_R2C_dirReg
	.globl	fft_rtc_back_len108_factors_9_4_3_wgs_192_tpt_12_halfLds_dim1_sp_op_CI_CI_unitstride_sbrr_R2C_dirReg
	.p2align	8
	.type	fft_rtc_back_len108_factors_9_4_3_wgs_192_tpt_12_halfLds_dim1_sp_op_CI_CI_unitstride_sbrr_R2C_dirReg,@function
fft_rtc_back_len108_factors_9_4_3_wgs_192_tpt_12_halfLds_dim1_sp_op_CI_CI_unitstride_sbrr_R2C_dirReg: ; @fft_rtc_back_len108_factors_9_4_3_wgs_192_tpt_12_halfLds_dim1_sp_op_CI_CI_unitstride_sbrr_R2C_dirReg
; %bb.0:
	s_load_b64 s[2:3], s[0:1], 0x20
	v_mul_u32_u24_e32 v2, 0x1556, v0
	v_mov_b32_e32 v19, 0
                                        ; implicit-def: $vgpr17
                                        ; implicit-def: $vgpr16
                                        ; implicit-def: $vgpr20
	s_delay_alu instid0(VALU_DEP_2) | instskip(SKIP_1) | instid1(VALU_DEP_2)
	v_lshrrev_b32_e32 v1, 16, v2
	v_bfe_u32 v2, v2, 16, 4
	v_lshl_add_u32 v18, ttmp9, 4, v1
	s_wait_kmcnt 0x0
	s_delay_alu instid0(VALU_DEP_1) | instskip(SKIP_1) | instid1(VALU_DEP_1)
	v_cmp_gt_u64_e32 vcc_lo, s[2:3], v[18:19]
	v_cmp_le_u64_e64 s2, s[2:3], v[18:19]
                                        ; implicit-def: $vgpr19
	s_and_saveexec_b32 s3, s2
	s_wait_alu 0xfffe
	s_xor_b32 s2, exec_lo, s3
; %bb.1:
	v_and_b32_e32 v1, 0xffff, v0
	s_delay_alu instid0(VALU_DEP_1) | instskip(NEXT) | instid1(VALU_DEP_1)
	v_mul_u32_u24_e32 v1, 0x1556, v1
	v_lshrrev_b32_e32 v1, 16, v1
	s_delay_alu instid0(VALU_DEP_1) | instskip(NEXT) | instid1(VALU_DEP_1)
	v_mul_lo_u16 v1, v1, 12
	v_sub_nc_u16 v17, v0, v1
                                        ; implicit-def: $vgpr1
                                        ; implicit-def: $vgpr0
	s_delay_alu instid0(VALU_DEP_1) | instskip(NEXT) | instid1(VALU_DEP_1)
	v_and_b32_e32 v16, 0xffff, v17
	v_add_nc_u32_e32 v20, 12, v16
	v_add_nc_u32_e32 v19, 24, v16
; %bb.2:
	s_wait_alu 0xfffe
	s_or_saveexec_b32 s3, s2
	s_clause 0x1
	s_load_b64 s[4:5], s[0:1], 0x18
	s_load_b64 s[6:7], s[0:1], 0x0
	v_mul_u32_u24_e32 v2, 0x6d, v2
	s_delay_alu instid0(VALU_DEP_1)
	v_lshlrev_b32_e32 v36, 3, v2
	s_xor_b32 exec_lo, exec_lo, s3
	s_cbranch_execz .LBB0_4
; %bb.3:
	s_clause 0x1
	s_load_b64 s[8:9], s[0:1], 0x10
	s_load_b64 s[10:11], s[0:1], 0x50
	v_mul_lo_u16 v1, v1, 12
	s_delay_alu instid0(VALU_DEP_1) | instskip(NEXT) | instid1(VALU_DEP_1)
	v_sub_nc_u16 v17, v0, v1
	v_and_b32_e32 v16, 0xffff, v17
	s_delay_alu instid0(VALU_DEP_1) | instskip(SKIP_3) | instid1(VALU_DEP_2)
	v_lshlrev_b32_e32 v19, 3, v16
	v_add_nc_u32_e32 v20, 12, v16
	s_wait_kmcnt 0x0
	s_load_b64 s[8:9], s[8:9], 0x8
	v_add3_u32 v23, 0, v36, v19
	s_wait_kmcnt 0x0
	v_mad_co_u64_u32 v[2:3], null, s8, v18, 0
	s_delay_alu instid0(VALU_DEP_1) | instskip(NEXT) | instid1(VALU_DEP_1)
	v_mad_co_u64_u32 v[3:4], null, s9, v18, v[3:4]
	v_lshlrev_b64_e32 v[0:1], 3, v[2:3]
	s_delay_alu instid0(VALU_DEP_1) | instskip(SKIP_1) | instid1(VALU_DEP_2)
	v_add_co_u32 v0, s2, s10, v0
	s_wait_alu 0xf1ff
	v_add_co_ci_u32_e64 v1, s2, s11, v1, s2
	s_delay_alu instid0(VALU_DEP_2) | instskip(SKIP_1) | instid1(VALU_DEP_2)
	v_add_co_u32 v0, s2, v0, v19
	s_wait_alu 0xf1ff
	v_add_co_ci_u32_e64 v1, s2, 0, v1, s2
	v_add_nc_u32_e32 v19, 24, v16
	s_clause 0x8
	global_load_b64 v[2:3], v[0:1], off
	global_load_b64 v[4:5], v[0:1], off offset:96
	global_load_b64 v[6:7], v[0:1], off offset:192
	;; [unrolled: 1-line block ×8, first 2 shown]
	s_wait_loadcnt 0x7
	ds_store_2addr_b64 v23, v[2:3], v[4:5] offset1:12
	s_wait_loadcnt 0x5
	ds_store_2addr_b64 v23, v[6:7], v[8:9] offset0:24 offset1:36
	s_wait_loadcnt 0x3
	ds_store_2addr_b64 v23, v[10:11], v[12:13] offset0:48 offset1:60
	;; [unrolled: 2-line block ×3, first 2 shown]
	s_wait_loadcnt 0x0
	ds_store_b64 v23, v[0:1] offset:768
.LBB0_4:
	s_or_b32 exec_lo, exec_lo, s3
	v_lshlrev_b32_e32 v33, 3, v16
	s_wait_kmcnt 0x0
	s_load_b64 s[4:5], s[4:5], 0x8
	global_wb scope:SCOPE_SE
	s_wait_dscnt 0x0
	s_wait_kmcnt 0x0
	s_barrier_signal -1
	s_barrier_wait -1
	v_add3_u32 v34, 0, v33, v36
	global_inv scope:SCOPE_SE
	v_cmp_gt_u16_e64 s2, 3, v17
	ds_load_2addr_b64 v[0:3], v34 offset0:12 offset1:24
	ds_load_2addr_b64 v[4:7], v34 offset0:84 offset1:96
	;; [unrolled: 1-line block ×4, first 2 shown]
	s_wait_dscnt 0x2
	v_dual_add_f32 v28, v3, v5 :: v_dual_add_nc_u32 v31, 0, v36
	v_add_f32_e32 v26, v1, v7
	s_delay_alu instid0(VALU_DEP_2)
	v_dual_add_f32 v25, v0, v6 :: v_dual_add_nc_u32 v32, v31, v33
	s_wait_dscnt 0x0
	v_dual_add_f32 v27, v2, v4 :: v_dual_add_f32 v30, v9, v15
	v_dual_add_f32 v29, v8, v14 :: v_dual_sub_f32 v38, v2, v4
	ds_load_b64 v[23:24], v32
	v_sub_f32_e32 v35, v0, v6
	v_dual_sub_f32 v37, v1, v7 :: v_dual_sub_f32 v8, v8, v14
	v_dual_sub_f32 v39, v3, v5 :: v_dual_add_f32 v40, v10, v12
	v_dual_sub_f32 v14, v9, v15 :: v_dual_sub_f32 v15, v11, v13
	s_delay_alu instid0(VALU_DEP_3)
	v_dual_sub_f32 v9, v10, v12 :: v_dual_mul_f32 v2, 0x3f248dbb, v37
	global_wb scope:SCOPE_SE
	s_wait_dscnt 0x0
	s_barrier_signal -1
	s_barrier_wait -1
	global_inv scope:SCOPE_SE
	v_fmac_f32_e32 v2, 0x3f7c1c5c, v39
	v_add_f32_e32 v44, v27, v25
	v_add_f32_e32 v42, v28, v26
	s_delay_alu instid0(VALU_DEP_3) | instskip(SKIP_3) | instid1(VALU_DEP_3)
	v_fmac_f32_e32 v2, 0x3f5db3d7, v14
	v_dual_fmamk_f32 v0, v25, 0x3f441b7d, v23 :: v_dual_fmamk_f32 v1, v26, 0x3f441b7d, v24
	v_dual_fmamk_f32 v6, v40, 0x3f441b7d, v23 :: v_dual_add_f32 v41, v11, v13
	v_mul_f32_e32 v4, 0xbf248dbb, v15
	v_dual_fmac_f32 v0, 0x3e31d0d4, v27 :: v_dual_fmac_f32 v1, 0x3e31d0d4, v28
	v_mul_f32_e32 v3, 0x3f248dbb, v35
	s_delay_alu instid0(VALU_DEP_4) | instskip(NEXT) | instid1(VALU_DEP_4)
	v_fmac_f32_e32 v6, 0x3e31d0d4, v25
	v_fmac_f32_e32 v4, 0x3f7c1c5c, v37
	s_delay_alu instid0(VALU_DEP_4) | instskip(NEXT) | instid1(VALU_DEP_4)
	v_dual_fmac_f32 v0, -0.5, v29 :: v_dual_fmac_f32 v1, -0.5, v30
	v_fmac_f32_e32 v3, 0x3f7c1c5c, v38
	v_fmac_f32_e32 v2, 0x3eaf1d44, v15
	v_fmac_f32_e32 v6, -0.5, v29
	s_delay_alu instid0(VALU_DEP_4) | instskip(NEXT) | instid1(VALU_DEP_4)
	v_dual_fmac_f32 v0, 0xbf708fb2, v40 :: v_dual_fmac_f32 v1, 0xbf708fb2, v41
	v_fmac_f32_e32 v3, 0x3f5db3d7, v8
	s_delay_alu instid0(VALU_DEP_2) | instskip(NEXT) | instid1(VALU_DEP_2)
	v_dual_mul_f32 v5, 0xbf248dbb, v9 :: v_dual_sub_f32 v0, v0, v2
	v_fmac_f32_e32 v3, 0x3eaf1d44, v9
	s_delay_alu instid0(VALU_DEP_2)
	v_fmac_f32_e32 v5, 0x3f7c1c5c, v35
	v_fmac_f32_e32 v4, 0xbf5db3d7, v14
	;; [unrolled: 1-line block ×3, first 2 shown]
	v_fma_f32 v21, 2.0, v2, v0
	v_add_f32_e32 v1, v3, v1
	v_fmac_f32_e32 v5, 0xbf5db3d7, v8
	v_fmac_f32_e32 v4, 0x3eaf1d44, v39
	v_fmamk_f32 v7, v41, 0x3f441b7d, v24
	s_delay_alu instid0(VALU_DEP_4) | instskip(NEXT) | instid1(VALU_DEP_3)
	v_fma_f32 v22, -2.0, v3, v1
	v_dual_fmac_f32 v5, 0x3eaf1d44, v38 :: v_dual_sub_f32 v2, v6, v4
	s_delay_alu instid0(VALU_DEP_3) | instskip(NEXT) | instid1(VALU_DEP_1)
	v_dual_add_f32 v6, v9, v35 :: v_dual_fmac_f32 v7, 0x3e31d0d4, v26
	v_sub_f32_e32 v43, v6, v38
	s_delay_alu instid0(VALU_DEP_2) | instskip(NEXT) | instid1(VALU_DEP_4)
	v_fmac_f32_e32 v7, -0.5, v30
	v_fma_f32 v4, 2.0, v4, v2
	v_add_f32_e32 v6, v30, v42
	s_delay_alu instid0(VALU_DEP_4) | instskip(NEXT) | instid1(VALU_DEP_4)
	v_mul_f32_e32 v46, 0x3f5db3d7, v43
	v_fmac_f32_e32 v7, 0xbf708fb2, v28
	s_delay_alu instid0(VALU_DEP_3) | instskip(NEXT) | instid1(VALU_DEP_2)
	v_dual_add_f32 v11, v11, v6 :: v_dual_add_f32 v6, v29, v23
	v_add_f32_e32 v3, v5, v7
	v_add_f32_e32 v7, v15, v37
	v_mul_f32_e32 v15, 0x3f7c1c5c, v15
	s_delay_alu instid0(VALU_DEP_4) | instskip(SKIP_1) | instid1(VALU_DEP_4)
	v_add_f32_e32 v11, v13, v11
	v_dual_add_f32 v13, v41, v42 :: v_dual_mul_f32 v42, 0x3f7c1c5c, v9
	v_sub_f32_e32 v45, v7, v39
	v_add_f32_e32 v47, v40, v44
	v_fma_f32 v5, -2.0, v5, v3
	v_add_f32_e32 v9, v11, v24
	v_fmamk_f32 v11, v27, 0x3f441b7d, v23
	v_fma_f32 v27, 0xbf248dbb, v38, -v42
	v_dual_mul_f32 v48, 0x3f5db3d7, v45 :: v_dual_add_f32 v7, v30, v24
	v_fmac_f32_e32 v6, -0.5, v47
	v_fmac_f32_e32 v24, 0x3f441b7d, v28
	s_delay_alu instid0(VALU_DEP_4) | instskip(SKIP_2) | instid1(VALU_DEP_4)
	v_fmac_f32_e32 v27, 0x3f5db3d7, v8
	v_add_f32_e32 v8, v29, v44
	v_fma_f32 v15, 0xbf248dbb, v39, -v15
	v_fmac_f32_e32 v24, 0x3e31d0d4, v41
	s_delay_alu instid0(VALU_DEP_2) | instskip(NEXT) | instid1(VALU_DEP_2)
	v_dual_add_f32 v8, v10, v8 :: v_dual_fmac_f32 v15, 0x3f5db3d7, v14
	v_dual_fmac_f32 v24, -0.5, v30 :: v_dual_fmac_f32 v7, -0.5, v13
	s_delay_alu instid0(VALU_DEP_2) | instskip(SKIP_1) | instid1(VALU_DEP_4)
	v_add_f32_e32 v8, v12, v8
	v_fmac_f32_e32 v11, 0x3e31d0d4, v40
	v_fmac_f32_e32 v15, 0x3eaf1d44, v37
	s_delay_alu instid0(VALU_DEP_4) | instskip(SKIP_1) | instid1(VALU_DEP_4)
	v_fmac_f32_e32 v24, 0xbf708fb2, v26
	v_fmac_f32_e32 v7, 0x3f5db3d7, v43
	v_dual_add_f32 v8, v8, v23 :: v_dual_fmac_f32 v11, -0.5, v29
	v_lshl_add_u32 v23, v16, 6, v34
	v_lshlrev_b32_e32 v37, 3, v19
	s_delay_alu instid0(VALU_DEP_4) | instskip(NEXT) | instid1(VALU_DEP_4)
	v_fma_f32 v13, -2.0, v46, v7
                                        ; implicit-def: $vgpr26
	v_fmac_f32_e32 v11, 0xbf708fb2, v25
	s_delay_alu instid0(VALU_DEP_1) | instskip(SKIP_3) | instid1(VALU_DEP_4)
	v_sub_f32_e32 v10, v11, v15
	v_fmac_f32_e32 v27, 0x3eaf1d44, v35
	v_fmac_f32_e32 v6, 0xbf5db3d7, v45
	v_lshl_add_u32 v35, v20, 3, v31
	v_fma_f32 v14, 2.0, v15, v10
	s_delay_alu instid0(VALU_DEP_4) | instskip(NEXT) | instid1(VALU_DEP_4)
	v_add_f32_e32 v11, v27, v24
	v_fma_f32 v12, 2.0, v48, v6
	s_delay_alu instid0(VALU_DEP_2)
	v_fma_f32 v15, -2.0, v27, v11
	ds_store_2addr_b64 v23, v[8:9], v[0:1] offset1:1
	ds_store_2addr_b64 v23, v[2:3], v[6:7] offset0:2 offset1:3
	ds_store_2addr_b64 v23, v[10:11], v[14:15] offset0:4 offset1:5
	;; [unrolled: 1-line block ×3, first 2 shown]
	ds_store_b64 v23, v[21:22] offset:64
	global_wb scope:SCOPE_SE
	s_wait_dscnt 0x0
	s_barrier_signal -1
	s_barrier_wait -1
	global_inv scope:SCOPE_SE
	ds_load_2addr_b64 v[12:15], v34 offset0:27 offset1:39
	ds_load_2addr_b64 v[8:11], v34 offset0:54 offset1:66
	;; [unrolled: 1-line block ×3, first 2 shown]
	ds_load_b64 v[29:30], v32
	ds_load_b64 v[27:28], v35
                                        ; implicit-def: $vgpr3
	s_and_saveexec_b32 s3, s2
	s_cbranch_execz .LBB0_6
; %bb.5:
	v_add3_u32 v21, 0, v37, v36
	ds_load_2addr_b64 v[0:3], v34 offset0:51 offset1:78
	ds_load_b64 v[21:22], v21
	ds_load_b64 v[25:26], v34 offset:840
.LBB0_6:
	s_wait_alu 0xfffe
	s_or_b32 exec_lo, exec_lo, s3
	v_dual_mov_b32 v24, 0 :: v_dual_add_nc_u32 v23, -9, v16
	v_cmp_gt_u16_e64 s3, 9, v17
	v_and_b32_e32 v38, 0xff, v20
	s_wait_alu 0xf1ff
	s_delay_alu instid0(VALU_DEP_2) | instskip(NEXT) | instid1(VALU_DEP_2)
	v_cndmask_b32_e64 v50, v23, v16, s3
	v_mul_lo_u16 v38, v38, 57
	s_delay_alu instid0(VALU_DEP_2) | instskip(NEXT) | instid1(VALU_DEP_2)
	v_mul_i32_i24_e32 v23, 3, v50
	v_lshrrev_b16 v51, 9, v38
	s_delay_alu instid0(VALU_DEP_2) | instskip(NEXT) | instid1(VALU_DEP_2)
	v_lshlrev_b64_e32 v[38:39], 3, v[23:24]
	v_mul_lo_u16 v23, v51, 9
	s_delay_alu instid0(VALU_DEP_1) | instskip(NEXT) | instid1(VALU_DEP_3)
	v_sub_nc_u16 v23, v20, v23
	v_add_co_u32 v42, s3, s6, v38
	s_wait_alu 0xf1ff
	s_delay_alu instid0(VALU_DEP_4)
	v_add_co_ci_u32_e64 v43, s3, s7, v39, s3
	v_cmp_lt_u16_e64 s3, 8, v17
	s_clause 0x1
	global_load_b128 v[38:41], v[42:43], off
	global_load_b64 v[46:47], v[42:43], off offset:16
	s_wait_alu 0xf1ff
	v_cndmask_b32_e64 v52, 0, 0x120, s3
	v_and_b32_e32 v23, 0xff, v23
	v_lshlrev_b32_e32 v50, 3, v50
	s_wait_loadcnt_dscnt 0x2
	s_delay_alu instid0(VALU_DEP_3) | instskip(NEXT) | instid1(VALU_DEP_1)
	v_dual_mul_f32 v53, v47, v5 :: v_dual_add_nc_u32 v52, 0, v52
	v_add3_u32 v50, v52, v50, v36
	v_mul_f32_e32 v52, v41, v9
	v_mul_u32_u24_e32 v42, 3, v23
	v_and_b32_e32 v51, 0xffff, v51
	v_mul_f32_e32 v47, v47, v4
	v_fmac_f32_e32 v53, v46, v4
	v_fmac_f32_e32 v52, v40, v8
	v_lshlrev_b32_e32 v48, 3, v42
	v_mad_u32_u24 v51, 0x120, v51, 0
	v_fma_f32 v4, v46, v5, -v47
	v_lshlrev_b32_e32 v23, 3, v23
	v_mul_f32_e32 v41, v41, v8
	s_delay_alu instid0(VALU_DEP_2)
	v_add3_u32 v23, v51, v23, v36
	v_mul_f32_e32 v51, v39, v13
	v_mul_f32_e32 v39, v39, v12
	s_clause 0x1
	global_load_b128 v[42:45], v48, s[6:7]
	global_load_b64 v[48:49], v48, s[6:7] offset:16
	v_fma_f32 v8, v40, v9, -v41
	global_wb scope:SCOPE_SE
	s_wait_loadcnt_dscnt 0x0
	v_fmac_f32_e32 v51, v38, v12
	v_fma_f32 v12, v38, v13, -v39
	s_barrier_signal -1
	s_barrier_wait -1
	global_inv scope:SCOPE_SE
	v_sub_f32_e32 v4, v12, v4
	s_delay_alu instid0(VALU_DEP_1) | instskip(SKIP_4) | instid1(VALU_DEP_4)
	v_fma_f32 v12, v12, 2.0, -v4
	v_mul_f32_e32 v38, v43, v15
	v_mul_f32_e32 v39, v45, v11
	v_sub_f32_e32 v9, v29, v52
	v_mul_f32_e32 v40, v45, v10
	v_dual_mul_f32 v41, v49, v7 :: v_dual_fmac_f32 v38, v42, v14
	s_delay_alu instid0(VALU_DEP_4) | instskip(NEXT) | instid1(VALU_DEP_4)
	v_fmac_f32_e32 v39, v44, v10
	v_fma_f32 v29, v29, 2.0, -v9
	v_dual_sub_f32 v13, v30, v8 :: v_dual_mul_f32 v8, v43, v14
	v_dual_sub_f32 v5, v51, v53 :: v_dual_add_f32 v4, v9, v4
	s_delay_alu instid0(VALU_DEP_4) | instskip(SKIP_1) | instid1(VALU_DEP_4)
	v_sub_f32_e32 v39, v27, v39
	v_mul_f32_e32 v43, v49, v6
	v_fma_f32 v14, v42, v15, -v8
	v_fma_f32 v10, v44, v11, -v40
	v_fmac_f32_e32 v41, v48, v6
	v_fma_f32 v45, v51, 2.0, -v5
	v_fma_f32 v11, v48, v7, -v43
	v_fma_f32 v8, v9, 2.0, -v4
	s_delay_alu instid0(VALU_DEP_4) | instskip(NEXT) | instid1(VALU_DEP_3)
	v_dual_sub_f32 v40, v28, v10 :: v_dual_sub_f32 v15, v38, v41
	v_dual_sub_f32 v6, v29, v45 :: v_dual_sub_f32 v11, v14, v11
	v_fma_f32 v30, v30, 2.0, -v13
	v_sub_f32_e32 v5, v13, v5
	v_fma_f32 v41, v27, 2.0, -v39
	v_fma_f32 v42, v28, 2.0, -v40
	;; [unrolled: 1-line block ×4, first 2 shown]
	v_dual_sub_f32 v7, v30, v12 :: v_dual_add_f32 v12, v39, v11
	v_fma_f32 v9, v13, 2.0, -v5
	v_sub_f32_e32 v13, v40, v15
	s_delay_alu instid0(VALU_DEP_4)
	v_dual_sub_f32 v14, v41, v27 :: v_dual_sub_f32 v15, v42, v28
	v_fma_f32 v10, v29, 2.0, -v6
	v_fma_f32 v11, v30, 2.0, -v7
	;; [unrolled: 1-line block ×6, first 2 shown]
	ds_store_2addr_b64 v50, v[6:7], v[4:5] offset0:18 offset1:27
	ds_store_2addr_b64 v50, v[10:11], v[8:9] offset1:9
	ds_store_2addr_b64 v23, v[29:30], v[27:28] offset1:9
	ds_store_2addr_b64 v23, v[14:15], v[12:13] offset0:18 offset1:27
	s_and_saveexec_b32 s3, s2
	s_cbranch_execz .LBB0_8
; %bb.7:
	v_and_b32_e32 v4, 0xff, v19
	s_delay_alu instid0(VALU_DEP_1) | instskip(NEXT) | instid1(VALU_DEP_1)
	v_mul_lo_u16 v4, v4, 57
	v_lshrrev_b16 v4, 9, v4
	s_delay_alu instid0(VALU_DEP_1) | instskip(NEXT) | instid1(VALU_DEP_1)
	v_mul_lo_u16 v4, v4, 9
	v_sub_nc_u16 v4, v19, v4
	s_delay_alu instid0(VALU_DEP_1) | instskip(NEXT) | instid1(VALU_DEP_1)
	v_and_b32_e32 v10, 0xff, v4
	v_mul_u32_u24_e32 v4, 3, v10
	s_delay_alu instid0(VALU_DEP_1)
	v_lshlrev_b32_e32 v8, 3, v4
	s_clause 0x1
	global_load_b128 v[4:7], v8, s[6:7]
	global_load_b64 v[8:9], v8, s[6:7] offset:16
	s_wait_loadcnt 0x1
	v_dual_mul_f32 v11, v2, v7 :: v_dual_mul_f32 v12, v1, v5
	v_mul_f32_e32 v7, v3, v7
	s_wait_loadcnt 0x0
	v_mul_f32_e32 v13, v26, v9
	v_mul_f32_e32 v5, v0, v5
	v_dual_mul_f32 v9, v25, v9 :: v_dual_fmac_f32 v12, v0, v4
	v_fma_f32 v3, v3, v6, -v11
	s_delay_alu instid0(VALU_DEP_4) | instskip(NEXT) | instid1(VALU_DEP_4)
	v_fmac_f32_e32 v13, v25, v8
	v_fma_f32 v0, v1, v4, -v5
	s_delay_alu instid0(VALU_DEP_4) | instskip(SKIP_2) | instid1(VALU_DEP_3)
	v_fma_f32 v1, v26, v8, -v9
	v_fmac_f32_e32 v7, v2, v6
	v_sub_f32_e32 v4, v22, v3
	v_sub_f32_e32 v2, v0, v1
	s_delay_alu instid0(VALU_DEP_3) | instskip(NEXT) | instid1(VALU_DEP_3)
	v_dual_sub_f32 v6, v21, v7 :: v_dual_sub_f32 v1, v12, v13
	v_fma_f32 v7, v22, 2.0, -v4
	s_delay_alu instid0(VALU_DEP_3) | instskip(NEXT) | instid1(VALU_DEP_3)
	v_fma_f32 v3, v0, 2.0, -v2
	v_fma_f32 v8, v21, 2.0, -v6
	s_delay_alu instid0(VALU_DEP_4) | instskip(SKIP_2) | instid1(VALU_DEP_3)
	v_fma_f32 v5, v12, 2.0, -v1
	v_lshlrev_b32_e32 v9, 3, v10
	v_dual_sub_f32 v1, v4, v1 :: v_dual_add_f32 v0, v6, v2
	v_dual_sub_f32 v3, v7, v3 :: v_dual_sub_f32 v2, v8, v5
	s_delay_alu instid0(VALU_DEP_3) | instskip(NEXT) | instid1(VALU_DEP_3)
	v_add3_u32 v9, 0, v9, v36
	v_fma_f32 v5, v4, 2.0, -v1
	s_delay_alu instid0(VALU_DEP_4) | instskip(NEXT) | instid1(VALU_DEP_4)
	v_fma_f32 v4, v6, 2.0, -v0
	v_fma_f32 v7, v7, 2.0, -v3
	;; [unrolled: 1-line block ×3, first 2 shown]
	ds_store_2addr_b64 v9, v[6:7], v[4:5] offset0:72 offset1:81
	ds_store_2addr_b64 v9, v[2:3], v[0:1] offset0:90 offset1:99
.LBB0_8:
	s_wait_alu 0xfffe
	s_or_b32 exec_lo, exec_lo, s3
	v_lshlrev_b32_e32 v23, 1, v16
	global_wb scope:SCOPE_SE
	s_wait_dscnt 0x0
	s_barrier_signal -1
	s_barrier_wait -1
	global_inv scope:SCOPE_SE
	v_lshlrev_b64_e32 v[0:1], 3, v[23:24]
	v_lshlrev_b32_e32 v23, 1, v20
	v_add3_u32 v40, 0, v37, v36
	s_delay_alu instid0(VALU_DEP_2) | instskip(NEXT) | instid1(VALU_DEP_4)
	v_lshlrev_b64_e32 v[4:5], 3, v[23:24]
	v_add_co_u32 v0, s2, s6, v0
	s_wait_alu 0xf1ff
	v_add_co_ci_u32_e64 v1, s2, s7, v1, s2
	s_delay_alu instid0(VALU_DEP_3)
	v_add_co_u32 v4, s2, s6, v4
	s_wait_alu 0xf1ff
	v_add_co_ci_u32_e64 v5, s2, s7, v5, s2
	s_clause 0x1
	global_load_b128 v[0:3], v[0:1], off offset:216
	global_load_b128 v[4:7], v[4:5], off offset:216
	v_lshlrev_b32_e32 v23, 1, v19
	s_delay_alu instid0(VALU_DEP_1) | instskip(NEXT) | instid1(VALU_DEP_1)
	v_lshlrev_b64_e32 v[8:9], 3, v[23:24]
	v_add_co_u32 v8, s2, s6, v8
	s_wait_alu 0xf1ff
	s_delay_alu instid0(VALU_DEP_2)
	v_add_co_ci_u32_e64 v9, s2, s7, v9, s2
	v_cmp_ne_u16_e64 s2, 0, v17
	global_load_b128 v[8:11], v[8:9], off offset:216
	ds_load_2addr_b64 v[12:15], v34 offset0:36 offset1:48
	ds_load_2addr_b64 v[21:24], v34 offset0:60 offset1:72
	;; [unrolled: 1-line block ×3, first 2 shown]
	ds_load_b64 v[29:30], v32
	ds_load_b64 v[36:37], v35
	;; [unrolled: 1-line block ×3, first 2 shown]
	global_wb scope:SCOPE_SE
	s_wait_loadcnt_dscnt 0x0
	s_barrier_signal -1
	s_barrier_wait -1
	global_inv scope:SCOPE_SE
	v_dual_mul_f32 v42, v3, v24 :: v_dual_mul_f32 v41, v1, v13
	s_delay_alu instid0(VALU_DEP_1) | instskip(NEXT) | instid1(VALU_DEP_2)
	v_dual_mul_f32 v1, v1, v12 :: v_dual_fmac_f32 v42, v2, v23
	v_fmac_f32_e32 v41, v0, v12
	s_delay_alu instid0(VALU_DEP_2) | instskip(SKIP_2) | instid1(VALU_DEP_2)
	v_fma_f32 v0, v0, v13, -v1
	v_mul_f32_e32 v3, v3, v23
	v_mul_f32_e32 v12, v5, v15
	v_fma_f32 v2, v2, v24, -v3
	s_delay_alu instid0(VALU_DEP_2) | instskip(NEXT) | instid1(VALU_DEP_2)
	v_fmac_f32_e32 v12, v4, v14
	v_add_f32_e32 v23, v0, v2
	v_mul_f32_e32 v1, v5, v14
	v_mul_f32_e32 v5, v7, v26
	v_dual_mul_f32 v7, v7, v25 :: v_dual_sub_f32 v14, v0, v2
	s_delay_alu instid0(VALU_DEP_3)
	v_fma_f32 v3, v4, v15, -v1
	v_dual_mul_f32 v1, v9, v21 :: v_dual_mul_f32 v4, v27, v11
	v_dual_add_f32 v15, v30, v0 :: v_dual_fmac_f32 v30, -0.5, v23
	v_fmac_f32_e32 v5, v6, v25
	v_fma_f32 v6, v6, v26, -v7
	v_mul_f32_e32 v7, v9, v22
	v_mul_f32_e32 v9, v28, v11
	s_delay_alu instid0(VALU_DEP_2) | instskip(SKIP_1) | instid1(VALU_DEP_3)
	v_fmac_f32_e32 v7, v8, v21
	v_fma_f32 v8, v8, v22, -v1
	v_fmac_f32_e32 v9, v27, v10
	v_fma_f32 v10, v28, v10, -v4
	v_dual_add_f32 v11, v29, v41 :: v_dual_add_f32 v4, v36, v12
	v_add_f32_e32 v1, v15, v2
	s_delay_alu instid0(VALU_DEP_3) | instskip(NEXT) | instid1(VALU_DEP_3)
	v_dual_add_f32 v15, v37, v3 :: v_dual_add_f32 v22, v8, v10
	v_add_f32_e32 v0, v11, v42
	v_add_f32_e32 v13, v41, v42
	v_sub_f32_e32 v24, v41, v42
	v_add_f32_e32 v21, v3, v6
	s_delay_alu instid0(VALU_DEP_3) | instskip(SKIP_1) | instid1(VALU_DEP_4)
	v_fma_f32 v29, -0.5, v13, v29
	v_sub_f32_e32 v13, v3, v6
	v_fmamk_f32 v3, v24, 0x3f5db3d7, v30
	v_fmac_f32_e32 v30, 0xbf5db3d7, v24
	v_add_f32_e32 v4, v4, v5
	v_dual_add_f32 v11, v12, v5 :: v_dual_fmamk_f32 v2, v14, 0xbf5db3d7, v29
	v_dual_fmac_f32 v29, 0x3f5db3d7, v14 :: v_dual_add_f32 v14, v7, v9
	v_sub_f32_e32 v12, v12, v5
	s_delay_alu instid0(VALU_DEP_3)
	v_fma_f32 v36, -0.5, v11, v36
	v_add_f32_e32 v5, v15, v6
	v_add_f32_e32 v11, v38, v7
	v_sub_f32_e32 v15, v8, v10
	v_fma_f32 v38, -0.5, v14, v38
	v_fmac_f32_e32 v37, -0.5, v21
	v_add_f32_e32 v21, v39, v8
	v_fmac_f32_e32 v39, -0.5, v22
	ds_store_2addr_b64 v34, v[0:1], v[2:3] offset1:36
	v_fmamk_f32 v0, v15, 0xbf5db3d7, v38
	v_dual_fmac_f32 v38, 0x3f5db3d7, v15 :: v_dual_sub_f32 v23, v7, v9
	v_fmamk_f32 v6, v13, 0xbf5db3d7, v36
	v_dual_fmamk_f32 v7, v12, 0x3f5db3d7, v37 :: v_dual_fmac_f32 v36, 0x3f5db3d7, v13
	v_dual_fmac_f32 v37, 0xbf5db3d7, v12 :: v_dual_add_f32 v8, v11, v9
	v_add_f32_e32 v9, v21, v10
	v_fmamk_f32 v1, v23, 0x3f5db3d7, v39
	v_fmac_f32_e32 v39, 0xbf5db3d7, v23
	ds_store_b64 v34, v[29:30] offset:576
	ds_store_2addr_b64 v35, v[4:5], v[6:7] offset1:36
	ds_store_b64 v35, v[36:37] offset:576
	ds_store_2addr_b64 v40, v[8:9], v[0:1] offset1:36
	ds_store_b64 v40, v[38:39] offset:576
	global_wb scope:SCOPE_SE
	s_wait_dscnt 0x0
	s_barrier_signal -1
	s_barrier_wait -1
	global_inv scope:SCOPE_SE
	ds_load_b64 v[2:3], v32
	v_sub_nc_u32_e32 v4, v31, v33
                                        ; implicit-def: $vgpr1
                                        ; implicit-def: $vgpr5
	s_and_saveexec_b32 s3, s2
	s_wait_alu 0xfffe
	s_xor_b32 s2, exec_lo, s3
	s_cbranch_execz .LBB0_10
; %bb.9:
	v_and_b32_e32 v0, 0xffff, v17
	s_delay_alu instid0(VALU_DEP_1)
	v_lshlrev_b32_e32 v0, 3, v0
	global_load_b64 v[6:7], v0, s[6:7] offset:792
	ds_load_b64 v[0:1], v4 offset:864
	s_wait_dscnt 0x0
	v_dual_sub_f32 v5, v2, v0 :: v_dual_add_f32 v8, v1, v3
	v_dual_sub_f32 v1, v3, v1 :: v_dual_add_f32 v0, v0, v2
	s_delay_alu instid0(VALU_DEP_2) | instskip(NEXT) | instid1(VALU_DEP_2)
	v_dual_mul_f32 v3, 0.5, v5 :: v_dual_mul_f32 v2, 0.5, v8
	v_mul_f32_e32 v1, 0.5, v1
	s_wait_loadcnt 0x0
	s_delay_alu instid0(VALU_DEP_2) | instskip(NEXT) | instid1(VALU_DEP_2)
	v_mul_f32_e32 v5, v7, v3
	v_fma_f32 v8, v2, v7, v1
	v_fma_f32 v1, v2, v7, -v1
	s_delay_alu instid0(VALU_DEP_3) | instskip(SKIP_1) | instid1(VALU_DEP_4)
	v_fma_f32 v9, 0.5, v0, v5
	v_fma_f32 v0, v0, 0.5, -v5
	v_fma_f32 v5, -v6, v3, v8
	s_delay_alu instid0(VALU_DEP_4) | instskip(NEXT) | instid1(VALU_DEP_4)
	v_fma_f32 v1, -v6, v3, v1
	v_fmac_f32_e32 v9, v6, v2
	s_delay_alu instid0(VALU_DEP_4)
	v_fma_f32 v0, -v6, v2, v0
                                        ; implicit-def: $vgpr2_vgpr3
	ds_store_b32 v32, v9
.LBB0_10:
	s_wait_alu 0xfffe
	s_and_not1_saveexec_b32 s2, s2
	s_cbranch_execz .LBB0_12
; %bb.11:
	ds_load_b32 v1, v31 offset:436
	s_wait_dscnt 0x1
	v_dual_mov_b32 v5, 0 :: v_dual_add_f32 v6, v2, v3
	v_sub_f32_e32 v0, v2, v3
	s_wait_dscnt 0x0
	v_xor_b32_e32 v2, 0x80000000, v1
	s_delay_alu instid0(VALU_DEP_3)
	v_mov_b32_e32 v1, v5
	ds_store_b32 v32, v6
	ds_store_b32 v31, v2 offset:436
.LBB0_12:
	s_wait_alu 0xfffe
	s_or_b32 exec_lo, exec_lo, s2
	v_mov_b32_e32 v21, 0
	s_wait_dscnt 0x0
	s_delay_alu instid0(VALU_DEP_1) | instskip(SKIP_1) | instid1(VALU_DEP_2)
	v_lshlrev_b64_e32 v[2:3], 3, v[20:21]
	v_dual_mov_b32 v20, v21 :: v_dual_mov_b32 v17, v21
	v_add_co_u32 v2, s2, s6, v2
	s_wait_alu 0xf1ff
	s_delay_alu instid0(VALU_DEP_3) | instskip(SKIP_2) | instid1(VALU_DEP_1)
	v_add_co_ci_u32_e64 v3, s2, s7, v3, s2
	global_load_b64 v[6:7], v[2:3], off offset:792
	v_lshlrev_b64_e32 v[2:3], 3, v[19:20]
	v_add_co_u32 v2, s2, s6, v2
	s_wait_alu 0xf1ff
	s_delay_alu instid0(VALU_DEP_2) | instskip(SKIP_4) | instid1(VALU_DEP_1)
	v_add_co_ci_u32_e64 v3, s2, s7, v3, s2
	s_add_nc_u64 s[2:3], s[6:7], 0x318
	global_load_b64 v[8:9], v[2:3], off offset:792
	v_lshlrev_b64_e32 v[2:3], 3, v[16:17]
	s_wait_alu 0xfffe
	v_add_co_u32 v2, s2, s2, v2
	s_wait_alu 0xf1ff
	s_delay_alu instid0(VALU_DEP_2)
	v_add_co_ci_u32_e64 v3, s2, s3, v3, s2
	s_mov_b32 s3, exec_lo
	global_load_b64 v[10:11], v[2:3], off offset:288
	ds_store_b32 v32, v5 offset:4
	ds_store_b64 v4, v[0:1] offset:864
	ds_load_b64 v[0:1], v35
	ds_load_b64 v[12:13], v4 offset:768
	s_wait_dscnt 0x0
	v_add_f32_e32 v14, v1, v13
	v_sub_f32_e32 v1, v1, v13
	s_delay_alu instid0(VALU_DEP_2) | instskip(SKIP_1) | instid1(VALU_DEP_3)
	v_mul_f32_e32 v13, 0.5, v14
	v_sub_f32_e32 v5, v0, v12
	v_dual_add_f32 v12, v0, v12 :: v_dual_mul_f32 v1, 0.5, v1
	s_delay_alu instid0(VALU_DEP_2) | instskip(SKIP_1) | instid1(VALU_DEP_1)
	v_mul_f32_e32 v5, 0.5, v5
	s_wait_loadcnt 0x2
	v_mul_f32_e32 v14, v7, v5
	s_delay_alu instid0(VALU_DEP_3) | instskip(SKIP_1) | instid1(VALU_DEP_3)
	v_fma_f32 v15, v13, v7, v1
	v_fma_f32 v7, v13, v7, -v1
	v_fma_f32 v0, 0.5, v12, v14
	v_fma_f32 v12, v12, 0.5, -v14
	s_delay_alu instid0(VALU_DEP_4) | instskip(NEXT) | instid1(VALU_DEP_4)
	v_fma_f32 v1, -v6, v5, v15
	v_fma_f32 v7, -v6, v5, v7
	s_delay_alu instid0(VALU_DEP_4) | instskip(NEXT) | instid1(VALU_DEP_4)
	v_fmac_f32_e32 v0, v6, v13
	v_fma_f32 v6, -v6, v13, v12
	v_lshl_add_u32 v12, v19, 3, v31
	ds_store_b64 v35, v[0:1]
	ds_store_b64 v4, v[6:7] offset:768
	ds_load_b64 v[0:1], v12
	ds_load_b64 v[5:6], v4 offset:672
	s_wait_dscnt 0x0
	v_sub_f32_e32 v7, v0, v5
	v_add_f32_e32 v13, v1, v6
	v_sub_f32_e32 v1, v1, v6
	s_delay_alu instid0(VALU_DEP_3) | instskip(NEXT) | instid1(VALU_DEP_3)
	v_dual_add_f32 v5, v0, v5 :: v_dual_mul_f32 v6, 0.5, v7
	v_mul_f32_e32 v7, 0.5, v13
	s_delay_alu instid0(VALU_DEP_3) | instskip(SKIP_1) | instid1(VALU_DEP_3)
	v_mul_f32_e32 v1, 0.5, v1
	s_wait_loadcnt 0x1
	v_mul_f32_e32 v13, v9, v6
	s_delay_alu instid0(VALU_DEP_2) | instskip(SKIP_1) | instid1(VALU_DEP_3)
	v_fma_f32 v14, v7, v9, v1
	v_fma_f32 v9, v7, v9, -v1
	v_fma_f32 v0, 0.5, v5, v13
	v_fma_f32 v5, v5, 0.5, -v13
	s_delay_alu instid0(VALU_DEP_4) | instskip(NEXT) | instid1(VALU_DEP_4)
	v_fma_f32 v1, -v8, v6, v14
	v_fma_f32 v6, -v8, v6, v9
	s_delay_alu instid0(VALU_DEP_4) | instskip(NEXT) | instid1(VALU_DEP_4)
	v_fmac_f32_e32 v0, v8, v7
	v_fma_f32 v5, -v8, v7, v5
	ds_store_b64 v12, v[0:1]
	ds_store_b64 v4, v[5:6] offset:672
	ds_load_b64 v[0:1], v32 offset:288
	ds_load_b64 v[5:6], v4 offset:576
	s_wait_dscnt 0x0
	v_dual_sub_f32 v7, v0, v5 :: v_dual_add_f32 v8, v1, v6
	v_sub_f32_e32 v1, v1, v6
	s_delay_alu instid0(VALU_DEP_2) | instskip(NEXT) | instid1(VALU_DEP_3)
	v_dual_add_f32 v5, v0, v5 :: v_dual_mul_f32 v6, 0.5, v7
	v_mul_f32_e32 v7, 0.5, v8
	s_wait_loadcnt 0x0
	s_delay_alu instid0(VALU_DEP_2) | instskip(NEXT) | instid1(VALU_DEP_1)
	v_dual_mul_f32 v1, 0.5, v1 :: v_dual_mul_f32 v8, v11, v6
	v_fma_f32 v9, v7, v11, v1
	v_fma_f32 v11, v7, v11, -v1
	s_delay_alu instid0(VALU_DEP_3)
	v_fma_f32 v0, 0.5, v5, v8
	v_fma_f32 v5, v5, 0.5, -v8
	v_or_b32_e32 v8, 48, v16
	v_fma_f32 v1, -v10, v6, v9
	v_fma_f32 v6, -v10, v6, v11
	v_fmac_f32_e32 v0, v10, v7
	v_fma_f32 v5, -v10, v7, v5
	ds_store_b64 v32, v[0:1] offset:288
	ds_store_b64 v4, v[5:6] offset:576
	v_cmpx_gt_u32_e32 54, v8
	s_cbranch_execz .LBB0_14
; %bb.13:
	global_load_b64 v[0:1], v[2:3], off offset:384
	ds_load_b64 v[2:3], v32 offset:384
	ds_load_b64 v[5:6], v4 offset:480
	s_wait_dscnt 0x0
	v_dual_sub_f32 v7, v2, v5 :: v_dual_add_f32 v8, v3, v6
	v_dual_sub_f32 v3, v3, v6 :: v_dual_add_f32 v2, v2, v5
	s_delay_alu instid0(VALU_DEP_2) | instskip(NEXT) | instid1(VALU_DEP_2)
	v_dual_mul_f32 v6, 0.5, v7 :: v_dual_mul_f32 v7, 0.5, v8
	v_mul_f32_e32 v3, 0.5, v3
	s_wait_loadcnt 0x0
	s_delay_alu instid0(VALU_DEP_2) | instskip(NEXT) | instid1(VALU_DEP_2)
	v_mul_f32_e32 v5, v1, v6
	v_fma_f32 v8, v7, v1, v3
	v_fma_f32 v3, v7, v1, -v3
	s_delay_alu instid0(VALU_DEP_3) | instskip(SKIP_1) | instid1(VALU_DEP_4)
	v_fma_f32 v1, 0.5, v2, v5
	v_fma_f32 v5, v2, 0.5, -v5
	v_fma_f32 v2, -v0, v6, v8
	s_delay_alu instid0(VALU_DEP_4) | instskip(NEXT) | instid1(VALU_DEP_4)
	v_fma_f32 v6, -v0, v6, v3
	v_fmac_f32_e32 v1, v0, v7
	s_delay_alu instid0(VALU_DEP_4)
	v_fma_f32 v5, -v0, v7, v5
	ds_store_b64 v32, v[1:2] offset:384
	ds_store_b64 v4, v[5:6] offset:480
.LBB0_14:
	s_wait_alu 0xfffe
	s_or_b32 exec_lo, exec_lo, s3
	global_wb scope:SCOPE_SE
	s_wait_dscnt 0x0
	s_barrier_signal -1
	s_barrier_wait -1
	global_inv scope:SCOPE_SE
	s_and_saveexec_b32 s2, vcc_lo
	s_cbranch_execz .LBB0_17
; %bb.15:
	v_mad_co_u64_u32 v[0:1], null, s4, v18, 0
	s_load_b64 s[0:1], s[0:1], 0x58
	v_dual_mov_b32 v17, 0 :: v_dual_add_nc_u32 v22, 48, v16
	s_delay_alu instid0(VALU_DEP_2) | instskip(SKIP_2) | instid1(VALU_DEP_4)
	v_mad_co_u64_u32 v[1:2], null, s5, v18, v[1:2]
	v_add_nc_u32_e32 v18, 36, v16
	v_lshl_add_u32 v2, v16, 3, v31
	v_dual_mov_b32 v12, v17 :: v_dual_add_nc_u32 v11, 12, v16
	v_lshlrev_b64_e32 v[20:21], 3, v[16:17]
	v_dual_mov_b32 v14, v17 :: v_dual_add_nc_u32 v13, 24, v16
	v_lshlrev_b64_e32 v[0:1], 3, v[0:1]
	ds_load_2addr_b64 v[3:6], v2 offset1:12
	ds_load_2addr_b64 v[7:10], v2 offset0:24 offset1:36
	v_lshlrev_b64_e32 v[11:12], 3, v[11:12]
	v_mov_b32_e32 v19, v17
	v_lshlrev_b64_e32 v[13:14], 3, v[13:14]
	s_wait_kmcnt 0x0
	v_add_co_u32 v0, vcc_lo, s0, v0
	v_add_co_ci_u32_e32 v1, vcc_lo, s1, v1, vcc_lo
	v_lshlrev_b64_e32 v[18:19], 3, v[18:19]
	s_delay_alu instid0(VALU_DEP_3) | instskip(SKIP_1) | instid1(VALU_DEP_3)
	v_add_co_u32 v20, vcc_lo, v0, v20
	s_wait_alu 0xfffd
	v_add_co_ci_u32_e32 v21, vcc_lo, v1, v21, vcc_lo
	v_add_co_u32 v11, vcc_lo, v0, v11
	s_wait_alu 0xfffd
	v_add_co_ci_u32_e32 v12, vcc_lo, v1, v12, vcc_lo
	;; [unrolled: 3-line block ×3, first 2 shown]
	v_add_co_u32 v18, vcc_lo, v0, v18
	v_mov_b32_e32 v23, v17
	s_wait_alu 0xfffd
	v_add_co_ci_u32_e32 v19, vcc_lo, v1, v19, vcc_lo
	s_wait_dscnt 0x1
	s_clause 0x1
	global_store_b64 v[20:21], v[3:4], off
	global_store_b64 v[11:12], v[5:6], off
	s_wait_dscnt 0x0
	s_clause 0x1
	global_store_b64 v[13:14], v[7:8], off
	global_store_b64 v[18:19], v[9:10], off
	v_dual_mov_b32 v8, v17 :: v_dual_add_nc_u32 v7, 60, v16
	v_mov_b32_e32 v14, v17
	v_lshlrev_b64_e32 v[22:23], 3, v[22:23]
	v_add_nc_u32_e32 v13, 0x48, v16
	v_dual_mov_b32 v19, v17 :: v_dual_add_nc_u32 v18, 0x54, v16
	v_lshlrev_b64_e32 v[7:8], 3, v[7:8]
	ds_load_2addr_b64 v[3:6], v2 offset0:48 offset1:60
	v_add_co_u32 v11, vcc_lo, v0, v22
	s_wait_alu 0xfffd
	v_add_co_ci_u32_e32 v12, vcc_lo, v1, v23, vcc_lo
	v_add_co_u32 v20, vcc_lo, v0, v7
	v_lshlrev_b64_e32 v[13:14], 3, v[13:14]
	v_dual_mov_b32 v23, v17 :: v_dual_add_nc_u32 v22, 0x60, v16
	s_wait_alu 0xfffd
	v_add_co_ci_u32_e32 v21, vcc_lo, v1, v8, vcc_lo
	ds_load_2addr_b64 v[7:10], v2 offset0:72 offset1:84
	v_lshlrev_b64_e32 v[18:19], 3, v[18:19]
	ds_load_b64 v[24:25], v2 offset:768
	v_add_co_u32 v13, vcc_lo, v0, v13
	v_lshlrev_b64_e32 v[22:23], 3, v[22:23]
	s_wait_alu 0xfffd
	v_add_co_ci_u32_e32 v14, vcc_lo, v1, v14, vcc_lo
	v_add_co_u32 v17, vcc_lo, v0, v18
	s_wait_alu 0xfffd
	v_add_co_ci_u32_e32 v18, vcc_lo, v1, v19, vcc_lo
	v_add_co_u32 v22, vcc_lo, v0, v22
	s_wait_alu 0xfffd
	v_add_co_ci_u32_e32 v23, vcc_lo, v1, v23, vcc_lo
	v_cmp_eq_u32_e32 vcc_lo, 11, v16
	s_wait_dscnt 0x2
	s_clause 0x1
	global_store_b64 v[11:12], v[3:4], off
	global_store_b64 v[20:21], v[5:6], off
	s_wait_dscnt 0x1
	s_clause 0x1
	global_store_b64 v[13:14], v[7:8], off
	global_store_b64 v[17:18], v[9:10], off
	s_wait_dscnt 0x0
	global_store_b64 v[22:23], v[24:25], off
	s_and_b32 exec_lo, exec_lo, vcc_lo
	s_cbranch_execz .LBB0_17
; %bb.16:
	ds_load_b64 v[2:3], v2 offset:776
	s_wait_dscnt 0x0
	global_store_b64 v[0:1], v[2:3], off offset:864
.LBB0_17:
	s_nop 0
	s_sendmsg sendmsg(MSG_DEALLOC_VGPRS)
	s_endpgm
	.section	.rodata,"a",@progbits
	.p2align	6, 0x0
	.amdhsa_kernel fft_rtc_back_len108_factors_9_4_3_wgs_192_tpt_12_halfLds_dim1_sp_op_CI_CI_unitstride_sbrr_R2C_dirReg
		.amdhsa_group_segment_fixed_size 0
		.amdhsa_private_segment_fixed_size 0
		.amdhsa_kernarg_size 96
		.amdhsa_user_sgpr_count 2
		.amdhsa_user_sgpr_dispatch_ptr 0
		.amdhsa_user_sgpr_queue_ptr 0
		.amdhsa_user_sgpr_kernarg_segment_ptr 1
		.amdhsa_user_sgpr_dispatch_id 0
		.amdhsa_user_sgpr_private_segment_size 0
		.amdhsa_wavefront_size32 1
		.amdhsa_uses_dynamic_stack 0
		.amdhsa_enable_private_segment 0
		.amdhsa_system_sgpr_workgroup_id_x 1
		.amdhsa_system_sgpr_workgroup_id_y 0
		.amdhsa_system_sgpr_workgroup_id_z 0
		.amdhsa_system_sgpr_workgroup_info 0
		.amdhsa_system_vgpr_workitem_id 0
		.amdhsa_next_free_vgpr 54
		.amdhsa_next_free_sgpr 12
		.amdhsa_reserve_vcc 1
		.amdhsa_float_round_mode_32 0
		.amdhsa_float_round_mode_16_64 0
		.amdhsa_float_denorm_mode_32 3
		.amdhsa_float_denorm_mode_16_64 3
		.amdhsa_fp16_overflow 0
		.amdhsa_workgroup_processor_mode 1
		.amdhsa_memory_ordered 1
		.amdhsa_forward_progress 0
		.amdhsa_round_robin_scheduling 0
		.amdhsa_exception_fp_ieee_invalid_op 0
		.amdhsa_exception_fp_denorm_src 0
		.amdhsa_exception_fp_ieee_div_zero 0
		.amdhsa_exception_fp_ieee_overflow 0
		.amdhsa_exception_fp_ieee_underflow 0
		.amdhsa_exception_fp_ieee_inexact 0
		.amdhsa_exception_int_div_zero 0
	.end_amdhsa_kernel
	.text
.Lfunc_end0:
	.size	fft_rtc_back_len108_factors_9_4_3_wgs_192_tpt_12_halfLds_dim1_sp_op_CI_CI_unitstride_sbrr_R2C_dirReg, .Lfunc_end0-fft_rtc_back_len108_factors_9_4_3_wgs_192_tpt_12_halfLds_dim1_sp_op_CI_CI_unitstride_sbrr_R2C_dirReg
                                        ; -- End function
	.section	.AMDGPU.csdata,"",@progbits
; Kernel info:
; codeLenInByte = 5008
; NumSgprs: 14
; NumVgprs: 54
; ScratchSize: 0
; MemoryBound: 0
; FloatMode: 240
; IeeeMode: 1
; LDSByteSize: 0 bytes/workgroup (compile time only)
; SGPRBlocks: 1
; VGPRBlocks: 6
; NumSGPRsForWavesPerEU: 14
; NumVGPRsForWavesPerEU: 54
; Occupancy: 15
; WaveLimiterHint : 1
; COMPUTE_PGM_RSRC2:SCRATCH_EN: 0
; COMPUTE_PGM_RSRC2:USER_SGPR: 2
; COMPUTE_PGM_RSRC2:TRAP_HANDLER: 0
; COMPUTE_PGM_RSRC2:TGID_X_EN: 1
; COMPUTE_PGM_RSRC2:TGID_Y_EN: 0
; COMPUTE_PGM_RSRC2:TGID_Z_EN: 0
; COMPUTE_PGM_RSRC2:TIDIG_COMP_CNT: 0
	.text
	.p2alignl 7, 3214868480
	.fill 96, 4, 3214868480
	.type	__hip_cuid_56fb0d9b23db7062,@object ; @__hip_cuid_56fb0d9b23db7062
	.section	.bss,"aw",@nobits
	.globl	__hip_cuid_56fb0d9b23db7062
__hip_cuid_56fb0d9b23db7062:
	.byte	0                               ; 0x0
	.size	__hip_cuid_56fb0d9b23db7062, 1

	.ident	"AMD clang version 19.0.0git (https://github.com/RadeonOpenCompute/llvm-project roc-6.4.0 25133 c7fe45cf4b819c5991fe208aaa96edf142730f1d)"
	.section	".note.GNU-stack","",@progbits
	.addrsig
	.addrsig_sym __hip_cuid_56fb0d9b23db7062
	.amdgpu_metadata
---
amdhsa.kernels:
  - .args:
      - .actual_access:  read_only
        .address_space:  global
        .offset:         0
        .size:           8
        .value_kind:     global_buffer
      - .actual_access:  read_only
        .address_space:  global
        .offset:         8
        .size:           8
        .value_kind:     global_buffer
      - .actual_access:  read_only
        .address_space:  global
        .offset:         16
        .size:           8
        .value_kind:     global_buffer
      - .actual_access:  read_only
        .address_space:  global
        .offset:         24
        .size:           8
        .value_kind:     global_buffer
      - .offset:         32
        .size:           8
        .value_kind:     by_value
      - .actual_access:  read_only
        .address_space:  global
        .offset:         40
        .size:           8
        .value_kind:     global_buffer
      - .actual_access:  read_only
        .address_space:  global
        .offset:         48
        .size:           8
        .value_kind:     global_buffer
      - .offset:         56
        .size:           4
        .value_kind:     by_value
      - .actual_access:  read_only
        .address_space:  global
        .offset:         64
        .size:           8
        .value_kind:     global_buffer
      - .actual_access:  read_only
        .address_space:  global
        .offset:         72
        .size:           8
        .value_kind:     global_buffer
      - .actual_access:  read_only
        .address_space:  global
        .offset:         80
        .size:           8
        .value_kind:     global_buffer
      - .actual_access:  write_only
        .address_space:  global
        .offset:         88
        .size:           8
        .value_kind:     global_buffer
    .group_segment_fixed_size: 0
    .kernarg_segment_align: 8
    .kernarg_segment_size: 96
    .language:       OpenCL C
    .language_version:
      - 2
      - 0
    .max_flat_workgroup_size: 192
    .name:           fft_rtc_back_len108_factors_9_4_3_wgs_192_tpt_12_halfLds_dim1_sp_op_CI_CI_unitstride_sbrr_R2C_dirReg
    .private_segment_fixed_size: 0
    .sgpr_count:     14
    .sgpr_spill_count: 0
    .symbol:         fft_rtc_back_len108_factors_9_4_3_wgs_192_tpt_12_halfLds_dim1_sp_op_CI_CI_unitstride_sbrr_R2C_dirReg.kd
    .uniform_work_group_size: 1
    .uses_dynamic_stack: false
    .vgpr_count:     54
    .vgpr_spill_count: 0
    .wavefront_size: 32
    .workgroup_processor_mode: 1
amdhsa.target:   amdgcn-amd-amdhsa--gfx1201
amdhsa.version:
  - 1
  - 2
...

	.end_amdgpu_metadata
